;; amdgpu-corpus repo=linkedin/Liger-Kernel kind=triton arch=gfx950 opt=O3 lang=triton
	.amdgcn_target "amdgcn-amd-amdhsa--gfx950"
	.amdhsa_code_object_version 5
	.text
	.globl	_poly_norm_backward_kernel      ; -- Begin function _poly_norm_backward_kernel
	.p2align	8
	.type	_poly_norm_backward_kernel,@function
_poly_norm_backward_kernel:             ; @_poly_norm_backward_kernel
.Lfunc_begin0:
	.cfi_sections .debug_frame
	.cfi_startproc
; %bb.31:
	.file	1 "/root/src/amdgpu-assembly/repos/linkedin__Liger-Kernel/triton_aot_kernels" "poly_norm_aot.py"
	.loc	1 84 0 prologue_end             ; poly_norm_aot.py:84:0
	s_load_dwordx2 s[2:3], s[0:1], 0x0
	s_load_dwordx8 s[4:11], s[0:1], 0x8
	s_load_dwordx4 s[12:15], s[0:1], 0x28
	s_waitcnt lgkmcnt(0)
	s_branch .LBB0_0
	.loc	1 0 0 is_stmt 0                 ; :0:0
.Ltmp0:
	.p2align	8
; %bb.32:
.LBB0_0:
	s_load_dword s18, s[0:1], 0x60
	s_load_dwordx2 s[20:21], s[0:1], 0x48
	s_load_dwordx2 s[22:23], s[0:1], 0x58
.Ltmp1:
	.loc	1 112 39 is_stmt 1              ; poly_norm_aot.py:112:39
	s_ashr_i32 s17, s16, 31
	.loc	1 113 31                        ; poly_norm_aot.py:113:31
	s_lshl_b64 s[24:25], s[16:17], 2
	s_waitcnt lgkmcnt(0)
	s_ashr_i32 s19, s18, 31
	.loc	1 129 36                        ; poly_norm_aot.py:129:36
	v_mov_b64_e32 v[2:3], s[18:19]
	v_cmp_ge_i64_e32 vcc, s[24:25], v[2:3]
	.loc	1 184 36                        ; poly_norm_aot.py:184:36
	v_readfirstlane_b32 s33, v0
	.loc	1 115 31                        ; poly_norm_aot.py:115:31
	v_and_b32_e32 v5, 63, v0
	.loc	1 129 36                        ; poly_norm_aot.py:129:36
	s_cbranch_vccnz .LBB0_27
; %bb.1:                                ; %.lr.ph
	.loc	1 0 36 is_stmt 0                ; poly_norm_aot.py:0:36
	s_load_dwordx2 s[34:35], s[0:1], 0x38
	s_load_dword s36, s[0:1], 0x40
	s_load_dword s30, s[0:1], 0x64
	.loc	1 114 39 is_stmt 1              ; poly_norm_aot.py:114:39
	s_add_u32 s26, s24, 4
	s_addc_u32 s27, s25, 0
	.loc	1 114 57 is_stmt 0              ; poly_norm_aot.py:114:57
	v_mov_b64_e32 v[2:3], s[18:19]
	v_cmp_lt_i64_e32 vcc, s[26:27], v[2:3]
	.loc	1 156 21 is_stmt 1              ; poly_norm_aot.py:156:21
	s_waitcnt lgkmcnt(0)
	v_cvt_f32_i32_e32 v1, s30
	.loc	1 114 57                        ; poly_norm_aot.py:114:57
	s_and_b64 s[28:29], vcc, exec
	s_cselect_b32 s26, s26, s18
	s_mov_b32 s18, 0x40400000
	.loc	1 125 17                        ; poly_norm_aot.py:125:17
	s_load_dwordx2 s[28:29], s[14:15], 0x0
	s_load_dword s38, s[14:15], 0x8
	.loc	1 156 21                        ; poly_norm_aot.py:156:21
	v_div_scale_f32 v2, s[14:15], v1, v1, s18
	v_rcp_f32_e32 v3, v2
	.loc	1 114 57                        ; poly_norm_aot.py:114:57
	s_cselect_b32 s27, s27, s19
	v_bfrev_b32_e32 v8, 1
	v_lshl_add_u32 v28, v0, 2, 0
	.loc	1 156 21                        ; poly_norm_aot.py:156:21
	v_fma_f32 v4, -v2, v3, 1.0
	v_fmac_f32_e32 v3, v4, v3
	v_div_scale_f32 v4, vcc, s18, v1, s18
	v_mul_f32_e32 v6, v4, v3
	v_fma_f32 v7, -v2, v6, v4
	v_fmac_f32_e32 v6, v7, v3
	v_fma_f32 v2, -v2, v6, v4
	.loc	1 162 51                        ; poly_norm_aot.py:162:51
	v_div_scale_f32 v4, s[14:15], v1, v1, 2.0
	v_rcp_f32_e32 v7, v4
	.loc	1 156 21                        ; poly_norm_aot.py:156:21
	v_div_fmas_f32 v2, v2, v3, v6
	v_div_fixup_f32 v22, v2, v1, s18
	s_lshr_b32 s18, s33, 4
	.loc	1 162 51                        ; poly_norm_aot.py:162:51
	v_fma_f32 v2, -v4, v7, 1.0
	v_fmac_f32_e32 v7, v2, v7
	v_div_scale_f32 v2, vcc, 2.0, v1, 2.0
	v_mul_f32_e32 v3, v2, v7
	v_fma_f32 v6, -v4, v3, v2
	v_fmac_f32_e32 v3, v6, v7
	v_fma_f32 v2, -v4, v3, v2
	.loc	1 167 56                        ; poly_norm_aot.py:167:56
	v_div_scale_f32 v4, s[14:15], v1, v1, 1.0
	v_rcp_f32_e32 v6, v4
	.loc	1 162 51                        ; poly_norm_aot.py:162:51
	v_div_fmas_f32 v2, v2, v7, v3
	v_div_fixup_f32 v23, v2, v1, 2.0
	.loc	1 115 31                        ; poly_norm_aot.py:115:31
	s_and_b32 s14, s33, 0xc0
	.loc	1 167 56                        ; poly_norm_aot.py:167:56
	v_fma_f32 v2, -v4, v6, 1.0
	v_fmac_f32_e32 v6, v2, v6
	v_div_scale_f32 v2, vcc, 1.0, v1, 1.0
	v_mul_f32_e32 v3, v2, v6
	v_fma_f32 v7, -v4, v3, v2
	v_fmac_f32_e32 v3, v7, v6
	v_fma_f32 v2, -v4, v3, v2
	v_div_fmas_f32 v2, v2, v6, v3
	v_div_fixup_f32 v6, v2, v1, 1.0
	.loc	1 115 31                        ; poly_norm_aot.py:115:31
	v_or_b32_e32 v1, s14, v5
	v_or_b32_e32 v4, 0x100, v1
	v_lshlrev_b32_e32 v7, 2, v1
	.loc	1 116 25                        ; poly_norm_aot.py:116:25
	v_cmp_gt_i32_e32 vcc, s30, v1
	.loc	1 115 31                        ; poly_norm_aot.py:115:31
	v_or_b32_e32 v2, 0x300, v1
	v_or_b32_e32 v3, 0x200, v1
	v_cndmask_b32_e32 v24, v8, v7, vcc
	v_lshlrev_b32_e32 v1, 2, v4
	.loc	1 116 25                        ; poly_norm_aot.py:116:25
	v_cmp_gt_i32_e32 vcc, s30, v4
	s_and_b32 s18, s18, 12
	s_add_i32 s39, s18, 0
	v_cndmask_b32_e32 v25, v8, v1, vcc
	v_lshlrev_b32_e32 v1, 2, v3
	v_cmp_gt_i32_e32 vcc, s30, v3
	v_cmp_gt_u32_e64 s[18:19], 4, v0
	v_and_b32_e32 v0, 3, v0
	v_cndmask_b32_e32 v26, v8, v1, vcc
	v_lshlrev_b32_e32 v1, 2, v2
	v_cmp_gt_i32_e32 vcc, s30, v2
	.loc	1 129 36                        ; poly_norm_aot.py:129:36
	s_mul_hi_i32 s41, s16, s36
	s_mul_i32 s40, s16, s36
	v_cndmask_b32_e32 v27, v8, v1, vcc
	v_cmp_eq_u32_e32 vcc, 0, v0
	.loc	1 130 37                        ; poly_norm_aot.py:130:37
	s_ashr_i32 s5, s4, 31
	.loc	1 131 35                        ; poly_norm_aot.py:131:35
	s_ashr_i32 s13, s12, 31
	;; [unrolled: 2-line block ×4, first 2 shown]
	s_and_b64 s[30:31], s[18:19], vcc
	.loc	1 129 36                        ; poly_norm_aot.py:129:36
	s_lshl_b64 s[40:41], s[40:41], 4
	s_add_u32 s34, s34, s40
	s_addc_u32 s35, s35, s41
	s_add_u32 s34, s34, 4
	s_mul_hi_i32 s41, s16, s8
	s_mul_i32 s40, s16, s8
	s_addc_u32 s35, s35, 0
	s_lshl_b64 s[36:37], s[36:37], 2
	s_lshl_b64 s[40:41], s[40:41], 4
	s_add_u32 s40, s6, s40
	s_addc_u32 s41, s7, s41
	s_mul_hi_i32 s7, s16, s12
	s_mul_i32 s6, s16, s12
	s_lshl_b64 s[8:9], s[8:9], 2
	s_lshl_b64 s[6:7], s[6:7], 4
	s_add_u32 s42, s10, s6
	s_addc_u32 s43, s11, s7
	s_mul_hi_i32 s7, s16, s4
	s_mul_i32 s6, s16, s4
	s_lshl_b64 s[10:11], s[12:13], 2
	s_lshl_b64 s[6:7], s[6:7], 4
	s_add_u32 s12, s2, s6
	.loc	1 130 37                        ; poly_norm_aot.py:130:37
	v_mov_b32_e32 v30, 0
	v_cmp_eq_u32_e64 s[14:15], 0, v5
	.loc	1 129 36                        ; poly_norm_aot.py:129:36
	s_addc_u32 s13, s3, s7
	s_lshl_b64 s[2:3], s[4:5], 2
	.loc	1 130 37                        ; poly_norm_aot.py:130:37
	v_mov_b32_e32 v8, 0
	v_mov_b32_e32 v4, 0
	;; [unrolled: 1-line block ×3, first 2 shown]
	s_mov_b32 s7, 0x27000
	s_mov_b32 s6, 0x7ffffffe
	v_mov_b32_e32 v9, v30
	s_branch .LBB0_3
.LBB0_2:                                ;   in Loop: Header=BB0_3 Depth=1
	.loc	1 0 37 is_stmt 0                ; poly_norm_aot.py:0:37
	s_or_b64 exec, exec, s[4:5]
	.loc	1 162 61 is_stmt 1              ; poly_norm_aot.py:162:61
	v_mul_f32_e32 v39, v23, v11
	v_mul_f32_e32 v36, v23, v18
	.loc	1 162 69 is_stmt 0              ; poly_norm_aot.py:162:69
	v_mul_f32_e32 v39, v11, v39
	.loc	1 162 104                       ; poly_norm_aot.py:162:104
	s_waitcnt vmcnt(0)
	v_mul_f32_e32 v40, v1, v1
	.loc	1 162 61                        ; poly_norm_aot.py:162:61
	v_mul_f32_e32 v38, v23, v7
	.loc	1 162 69                        ; poly_norm_aot.py:162:69
	;; [unrolled: 2-line block ×3, first 2 shown]
	v_mul_f32_e32 v39, v11, v39
	.loc	1 162 104                       ; poly_norm_aot.py:162:104
	v_mul_f32_e32 v40, v1, v40
	.loc	1 162 18                        ; poly_norm_aot.py:162:18
	v_add_f32_e32 v35, v11, v11
	.loc	1 162 61                        ; poly_norm_aot.py:162:61
	v_mul_f32_e32 v37, v23, v3
	.loc	1 162 69                        ; poly_norm_aot.py:162:69
	v_mul_f32_e32 v38, v7, v38
	;; [unrolled: 2-line block ×4, first 2 shown]
	.loc	1 162 18                        ; poly_norm_aot.py:162:18
	v_add_f32_e32 v32, v18, v18
	.loc	1 162 26                        ; poly_norm_aot.py:162:26
	v_mul_f32_e32 v35, v35, v1
	.loc	1 162 69                        ; poly_norm_aot.py:162:69
	v_mul_f32_e32 v37, v3, v37
	;; [unrolled: 2-line block ×4, first 2 shown]
	.loc	1 162 114                       ; poly_norm_aot.py:162:114
	v_mul_f32_e32 v39, v39, v20
	.loc	1 162 18                        ; poly_norm_aot.py:162:18
	v_add_f32_e32 v34, v7, v7
	.loc	1 162 26                        ; poly_norm_aot.py:162:26
	v_mul_f32_e32 v32, v32, v1
	.loc	1 162 77                        ; poly_norm_aot.py:162:77
	v_mul_f32_e32 v37, v3, v37
	;; [unrolled: 2-line block ×3, first 2 shown]
	.loc	1 162 114                       ; poly_norm_aot.py:162:114
	v_mul_f32_e32 v36, v36, v20
	.loc	1 162 44                        ; poly_norm_aot.py:162:44
	v_fma_f32 v35, v12, v35, -v39
	.loc	1 156 31 is_stmt 1              ; poly_norm_aot.py:156:31
	v_mul_f32_e32 v39, v22, v11
	.loc	1 162 18                        ; poly_norm_aot.py:162:18
	v_add_f32_e32 v33, v3, v3
	.loc	1 162 26 is_stmt 0              ; poly_norm_aot.py:162:26
	v_mul_f32_e32 v34, v34, v1
	.loc	1 162 86                        ; poly_norm_aot.py:162:86
	v_mul_f32_e32 v37, v37, v40
	.loc	1 162 114                       ; poly_norm_aot.py:162:114
	v_mul_f32_e32 v38, v38, v20
	.loc	1 162 44                        ; poly_norm_aot.py:162:44
	v_fma_f32 v32, v10, v32, -v36
	.loc	1 156 39 is_stmt 1              ; poly_norm_aot.py:156:39
	v_mul_f32_e32 v39, v11, v39
	.loc	1 162 26                        ; poly_norm_aot.py:162:26
	v_mul_f32_e32 v33, v33, v1
	.loc	1 162 114 is_stmt 0             ; poly_norm_aot.py:162:114
	v_mul_f32_e32 v37, v37, v20
	.loc	1 162 44                        ; poly_norm_aot.py:162:44
	v_fma_f32 v34, v14, v34, -v38
	.loc	1 162 12                        ; poly_norm_aot.py:162:12
	v_mul_f32_e32 v36, s29, v32
	.loc	1 156 31 is_stmt 1              ; poly_norm_aot.py:156:31
	v_mul_f32_e32 v32, v22, v18
	v_mul_f32_e32 v38, v22, v7
	.loc	1 156 47 is_stmt 0              ; poly_norm_aot.py:156:47
	v_mul_f32_e32 v39, v11, v39
	.loc	1 162 44 is_stmt 1              ; poly_norm_aot.py:162:44
	v_fma_f32 v33, v16, v33, -v37
	.loc	1 156 39                        ; poly_norm_aot.py:156:39
	v_mul_f32_e32 v32, v18, v32
	v_mul_f32_e32 v38, v7, v38
	.loc	1 156 55 is_stmt 0              ; poly_norm_aot.py:156:55
	v_mul_f32_e32 v39, v11, v39
	.loc	1 156 90                        ; poly_norm_aot.py:156:90
	v_mul_f32_e32 v40, v0, v0
	.loc	1 162 12 is_stmt 1              ; poly_norm_aot.py:162:12
	v_mul_f32_e32 v37, s29, v33
	.loc	1 156 31                        ; poly_norm_aot.py:156:31
	v_mul_f32_e32 v33, v22, v3
	.loc	1 156 47 is_stmt 0              ; poly_norm_aot.py:156:47
	v_mul_f32_e32 v32, v18, v32
	v_mul_f32_e32 v38, v7, v38
	.loc	1 156 63                        ; poly_norm_aot.py:156:63
	v_mul_f32_e32 v39, v11, v39
	.loc	1 156 90                        ; poly_norm_aot.py:156:90
	v_mul_f32_e32 v40, v0, v40
	.loc	1 155 18 is_stmt 1              ; poly_norm_aot.py:155:18
	v_mul_f32_e32 v31, 0x40400000, v31
	.loc	1 156 39                        ; poly_norm_aot.py:156:39
	v_mul_f32_e32 v33, v3, v33
	.loc	1 156 55 is_stmt 0              ; poly_norm_aot.py:156:55
	v_mul_f32_e32 v32, v18, v32
	v_mul_f32_e32 v38, v7, v38
	.loc	1 156 72                        ; poly_norm_aot.py:156:72
	v_mul_f32_e32 v39, v40, v39
	.loc	1 178 40 is_stmt 1              ; poly_norm_aot.py:178:40
	s_and_b32 s5, s41, 0xffff
	.loc	1 155 27                        ; poly_norm_aot.py:155:27
	v_mul_f32_e32 v31, v0, v31
	.loc	1 156 47                        ; poly_norm_aot.py:156:47
	v_mul_f32_e32 v33, v3, v33
	.loc	1 156 63 is_stmt 0              ; poly_norm_aot.py:156:63
	v_mul_f32_e32 v32, v18, v32
	v_mul_f32_e32 v38, v7, v38
	.loc	1 156 100                       ; poly_norm_aot.py:156:100
	v_mul_f32_e32 v39, v39, v21
	.loc	1 129 36 is_stmt 1              ; poly_norm_aot.py:129:36
	s_add_u32 s24, s24, 1
	.loc	1 155 18                        ; poly_norm_aot.py:155:18
	v_mul_f32_e32 v15, 0x40400000, v15
	v_mul_f32_e32 v19, 0x40400000, v19
	.loc	1 156 55                        ; poly_norm_aot.py:156:55
	v_mul_f32_e32 v33, v3, v33
	.loc	1 156 72 is_stmt 0              ; poly_norm_aot.py:156:72
	v_mul_f32_e32 v32, v32, v40
	v_mul_f32_e32 v38, v40, v38
	.loc	1 156 14                        ; poly_norm_aot.py:156:14
	v_fma_f32 v31, v12, v31, -v39
.Ltmp2:
	.file	2 "/root/.local/lib/python3.13/site-packages/triton/language" "standard.py"
	.loc	2 293 36 is_stmt 1              ; standard.py:293:36 @[ poly_norm_aot.py:166:21 ]
	s_waitcnt lgkmcnt(0)
	s_barrier
	ds_read_b32 v39, v30
.Ltmp3:
	.loc	1 129 36                        ; poly_norm_aot.py:129:36
	s_addc_u32 s25, s25, 0
	.loc	1 155 27                        ; poly_norm_aot.py:155:27
	v_mul_f32_e32 v15, v15, v0
	v_mul_f32_e32 v19, v0, v19
	.loc	1 156 63                        ; poly_norm_aot.py:156:63
	v_mul_f32_e32 v33, v3, v33
	.loc	1 156 100 is_stmt 0             ; poly_norm_aot.py:156:100
	v_mul_f32_e32 v32, v32, v21
	v_mul_f32_e32 v38, v38, v21
	.loc	1 129 36 is_stmt 1              ; poly_norm_aot.py:129:36
	s_add_u32 s34, s34, s36
	.loc	1 155 18                        ; poly_norm_aot.py:155:18
	v_mul_f32_e32 v17, 0x40400000, v17
	.loc	1 156 72                        ; poly_norm_aot.py:156:72
	v_mul_f32_e32 v33, v40, v33
	.loc	1 156 14 is_stmt 0              ; poly_norm_aot.py:156:14
	v_fma_f32 v40, v10, v15, -v32
	v_fma_f32 v38, v14, v19, -v38
	.loc	1 167 66 is_stmt 1              ; poly_norm_aot.py:167:66
	v_mul_f32_e32 v15, v6, v7
	.loc	1 167 84 is_stmt 0              ; poly_norm_aot.py:167:84
	v_mul_f32_e32 v7, v2, v2
	.loc	1 167 66                        ; poly_norm_aot.py:167:66
	v_mov_b32_e32 v19, v2
	.loc	1 129 36 is_stmt 1              ; poly_norm_aot.py:129:36
	s_addc_u32 s35, s35, s37
	.loc	1 155 27                        ; poly_norm_aot.py:155:27
	v_mul_f32_e32 v17, v17, v0
	.loc	1 156 100                       ; poly_norm_aot.py:156:100
	v_mul_f32_e32 v33, v33, v21
	.loc	1 167 66                        ; poly_norm_aot.py:167:66
	v_pk_mul_f32 v[18:19], v[6:7], v[18:19]
	.loc	1 178 40                        ; poly_norm_aot.py:178:40
	s_mov_b32 s4, s40
	.loc	1 129 36                        ; poly_norm_aot.py:129:36
	s_add_u32 s40, s40, s8
	.loc	1 156 14                        ; poly_norm_aot.py:156:14
	v_fma_f32 v41, v16, v17, -v33
	.loc	1 149 18                        ; poly_norm_aot.py:149:18
	v_add_f32_e32 v29, v29, v13
	.loc	1 167 66                        ; poly_norm_aot.py:167:66
	v_mul_f32_e32 v17, v6, v3
	v_mul_f32_e32 v13, v6, v11
	.loc	1 167 75 is_stmt 0              ; poly_norm_aot.py:167:75
	v_pk_mul_f32 v[32:33], v[18:19], v[18:19] op_sel_hi:[0,1]
	.loc	1 167 40                        ; poly_norm_aot.py:167:40
	v_mov_b32_e32 v3, v19
	.loc	1 129 36 is_stmt 1              ; poly_norm_aot.py:129:36
	s_addc_u32 s41, s41, s9
	.loc	1 167 40                        ; poly_norm_aot.py:167:40
	v_pk_mul_f32 v[16:17], v[16:17], v[2:3]
	v_pk_mul_f32 v[14:15], v[14:15], v[2:3]
	;; [unrolled: 1-line block ×3, first 2 shown]
	v_mov_b32_e32 v11, v33
	s_waitcnt lgkmcnt(0)
	v_mov_b32_e32 v3, v39
	.loc	1 129 36                        ; poly_norm_aot.py:129:36
	s_add_u32 s42, s42, s10
	.loc	1 167 40                        ; poly_norm_aot.py:167:40
	v_pk_mul_f32 v[10:11], v[10:11], v[2:3]
	.loc	1 170 19                        ; poly_norm_aot.py:170:19
	v_pk_fma_f32 v[8:9], v[0:1], v[20:21], v[8:9] op_sel:[1,0,0] op_sel_hi:[0,1,1]
	.loc	1 129 36                        ; poly_norm_aot.py:129:36
	s_addc_u32 s43, s43, s11
	v_mov_b64_e32 v[0:1], s[26:27]
	.loc	1 162 12                        ; poly_norm_aot.py:162:12
	v_mul_f32_e32 v34, s29, v34
	v_mul_f32_e32 v35, s29, v35
	.loc	1 167 49                        ; poly_norm_aot.py:167:49
	v_sub_f32_e32 v3, v10, v11
	.loc	1 175 28                        ; poly_norm_aot.py:175:28
	v_fmac_f32_e32 v36, s28, v40
	.loc	1 129 36                        ; poly_norm_aot.py:129:36
	s_add_u32 s12, s12, s2
	v_cmp_lt_i64_e32 vcc, s[24:25], v[0:1]
	.loc	1 167 49                        ; poly_norm_aot.py:167:49
	v_fma_f32 v7, -v17, v39, v16
	v_fma_f32 v10, -v15, v39, v14
	;; [unrolled: 1-line block ×3, first 2 shown]
	.loc	1 172 19                        ; poly_norm_aot.py:172:19
	v_fmac_f32_e32 v4, v2, v39
	.loc	1 175 28                        ; poly_norm_aot.py:175:28
	v_fmac_f32_e32 v37, s28, v41
	v_fmac_f32_e32 v34, s28, v38
	;; [unrolled: 1-line block ×3, first 2 shown]
	.loc	1 175 39 is_stmt 0              ; poly_norm_aot.py:175:39
	v_fmac_f32_e32 v36, s38, v3
	.loc	1 129 36 is_stmt 1              ; poly_norm_aot.py:129:36
	s_addc_u32 s13, s13, s3
	s_and_b64 vcc, exec, vcc
	.loc	1 175 39                        ; poly_norm_aot.py:175:39
	v_fmac_f32_e32 v37, s38, v7
	v_fmac_f32_e32 v34, s38, v10
	;; [unrolled: 1-line block ×3, first 2 shown]
	.loc	1 178 40                        ; poly_norm_aot.py:178:40
	buffer_store_dword v36, v24, s[4:7], 0 offen
	buffer_store_dword v37, v25, s[4:7], 0 offen
	;; [unrolled: 1-line block ×4, first 2 shown]
	.loc	1 129 36                        ; poly_norm_aot.py:129:36
	s_cbranch_vccz .LBB0_28
.LBB0_3:                                ; =>This Inner Loop Header: Depth=1
	.loc	1 135 25                        ; poly_norm_aot.py:135:25
	s_and_b32 s5, s13, 0xffff
	s_mov_b32 s4, s12
	buffer_load_dword v10, v24, s[4:7], 0 offen
	buffer_load_dword v16, v25, s[4:7], 0 offen
	;; [unrolled: 1-line block ×4, first 2 shown]
	.loc	1 136 24                        ; poly_norm_aot.py:136:24
	s_and_b32 s5, s43, 0xffff
	s_mov_b32 s4, s42
	buffer_load_dword v18, v24, s[4:7], 0 offen
	buffer_load_dword v3, v25, s[4:7], 0 offen
	;; [unrolled: 1-line block ×4, first 2 shown]
	.loc	1 139 25                        ; poly_norm_aot.py:139:25
	global_load_dwordx3 v[0:2], v30, s[34:35] offset:-4
                                        ; kill: killed $sgpr4_sgpr5
.Ltmp4:
	.loc	2 293 36                        ; standard.py:293:36 @[ poly_norm_aot.py:149:25 ]
	s_waitcnt lgkmcnt(0)
	s_barrier
.Ltmp5:
	.loc	2 263 15                        ; standard.py:263:15 @[ standard.py:293:36 @[ poly_norm_aot.py:149:25 ] ]
	s_waitcnt vmcnt(7)
	v_add_f32_e32 v13, v10, v16
	s_waitcnt vmcnt(6)
	v_add_f32_e32 v13, v13, v14
	;; [unrolled: 2-line block ×3, first 2 shown]
	s_nop 1
	v_add_f32_dpp v13, v13, v13 row_shr:8 row_mask:0xf bank_mask:0xf bound_ctrl:1
	s_nop 1
	v_add_f32_dpp v13, v13, v13 row_shr:4 row_mask:0xf bank_mask:0xf bound_ctrl:1
	s_nop 1
	v_add_f32_dpp v13, v13, v13 row_shr:2 row_mask:0xf bank_mask:0xf bound_ctrl:1
	s_nop 1
	v_add_f32_dpp v13, v13, v13 row_shr:1 row_mask:0xf bank_mask:0xf bound_ctrl:1
.Ltmp6:
	.loc	2 293 36                        ; standard.py:293:36 @[ poly_norm_aot.py:149:25 ]
	v_mov_b32_e32 v15, v13
	s_nop 1
	v_mov_b32_dpp v15, v15 row_bcast:15 row_mask:0xa bank_mask:0xf bound_ctrl:1
.Ltmp7:
	.loc	2 263 15                        ; standard.py:263:15 @[ standard.py:293:36 @[ poly_norm_aot.py:149:25 ] ]
	v_add_f32_e32 v13, v13, v15
	s_nop 1
	v_add_f32_dpp v13, v13, v13 row_bcast:31 row_mask:0xf bank_mask:0xf bound_ctrl:1
.Ltmp8:
	.loc	2 293 36                        ; standard.py:293:36 @[ poly_norm_aot.py:149:25 ]
	s_nop 0
	v_readlane_b32 s44, v13, 63
	s_and_saveexec_b64 s[4:5], s[14:15]
; %bb.4:                                ;   in Loop: Header=BB0_3 Depth=1
	v_mov_b32_e32 v13, s39
	v_mov_b32_e32 v15, s44
	ds_write_b32 v13, v15
.Ltmp9:
; %bb.5:                                ;   in Loop: Header=BB0_3 Depth=1
	.loc	2 0 36 is_stmt 0                ; standard.py:0:36
	s_or_b64 exec, exec, s[4:5]
	.loc	1 149 25 is_stmt 1              ; poly_norm_aot.py:149:25
	v_mov_b32_e32 v13, 0
.Ltmp10:
	.loc	2 293 36                        ; standard.py:293:36 @[ poly_norm_aot.py:149:25 ]
	s_waitcnt lgkmcnt(0)
	s_barrier
	s_and_saveexec_b64 s[4:5], s[18:19]
; %bb.6:                                ;   in Loop: Header=BB0_3 Depth=1
	ds_read_b32 v13, v28
; %bb.7:                                ;   in Loop: Header=BB0_3 Depth=1
	.loc	2 0 36 is_stmt 0                ; standard.py:0:36
	s_or_b64 exec, exec, s[4:5]
	.loc	2 293 36                        ; standard.py:293:36 @[ poly_norm_aot.py:149:25 ]
	s_waitcnt lgkmcnt(0)
	v_mov_b32_e32 v15, v13
	s_nop 1
	v_mov_b32_dpp v15, v15 quad_perm:[2,3,0,1] row_mask:0xf bank_mask:0xf
.Ltmp11:
	.loc	2 263 15 is_stmt 1              ; standard.py:263:15 @[ standard.py:293:36 @[ poly_norm_aot.py:149:25 ] ]
	v_add_f32_e32 v13, v13, v15
.Ltmp12:
	.loc	2 293 36                        ; standard.py:293:36 @[ poly_norm_aot.py:149:25 ]
	v_mov_b32_e32 v15, v13
	s_nop 1
	v_mov_b32_dpp v15, v15 quad_perm:[1,0,3,2] row_mask:0xf bank_mask:0xf
	s_and_saveexec_b64 s[4:5], s[30:31]
; %bb.8:                                ;   in Loop: Header=BB0_3 Depth=1
	.loc	2 0 36 is_stmt 0                ; standard.py:0:36
	v_add_f32_e32 v13, v13, v15
	.loc	2 293 36                        ; standard.py:293:36 @[ poly_norm_aot.py:149:25 ]
	ds_write_b32 v28, v13
.Ltmp13:
; %bb.9:                                ;   in Loop: Header=BB0_3 Depth=1
	.loc	2 0 36                          ; standard.py:0:36
	s_or_b64 exec, exec, s[4:5]
	.loc	1 144 25 is_stmt 1              ; poly_norm_aot.py:144:25
	s_waitcnt vmcnt(4)
	v_mul_f32_e32 v15, v18, v18
	s_waitcnt vmcnt(3)
	v_mul_f32_e32 v17, v3, v3
.Ltmp14:
	.loc	2 263 15                        ; standard.py:263:15 @[ standard.py:293:36 @[ poly_norm_aot.py:153:21 ] ]
	v_mul_f32_e32 v21, v15, v18
.Ltmp15:
	.loc	1 144 25                        ; poly_norm_aot.py:144:25
	s_waitcnt vmcnt(2)
	v_mul_f32_e32 v19, v7, v7
.Ltmp16:
	.loc	2 263 15                        ; standard.py:263:15 @[ standard.py:293:36 @[ poly_norm_aot.py:153:21 ] ]
	v_mul_f32_e32 v20, v17, v3
	v_mul_f32_e32 v21, v21, v10
.Ltmp17:
	.loc	1 144 25                        ; poly_norm_aot.py:144:25
	s_waitcnt vmcnt(1)
	v_mul_f32_e32 v31, v11, v11
.Ltmp18:
	.loc	2 263 15                        ; standard.py:263:15 @[ standard.py:293:36 @[ poly_norm_aot.py:153:21 ] ]
	v_fmac_f32_e32 v21, v20, v16
	v_mul_f32_e32 v20, v19, v7
	v_fmac_f32_e32 v21, v20, v14
	v_mul_f32_e32 v20, v31, v11
	v_fmac_f32_e32 v21, v20, v12
.Ltmp19:
	.loc	2 293 36                        ; standard.py:293:36 @[ poly_norm_aot.py:149:25 ]
	s_waitcnt lgkmcnt(0)
	s_barrier
.Ltmp20:
	.loc	2 263 15                        ; standard.py:263:15 @[ standard.py:293:36 @[ poly_norm_aot.py:153:21 ] ]
	v_add_f32_dpp v20, v21, v21 row_shr:8 row_mask:0xf bank_mask:0xf bound_ctrl:1
.Ltmp21:
	.loc	2 293 36                        ; standard.py:293:36 @[ poly_norm_aot.py:149:25 ]
	ds_read_b32 v13, v30
.Ltmp22:
	.loc	2 293 36 is_stmt 0              ; standard.py:293:36 @[ poly_norm_aot.py:153:21 ]
	s_waitcnt lgkmcnt(0)
.Ltmp23:
	.loc	2 263 15 is_stmt 1              ; standard.py:263:15 @[ standard.py:293:36 @[ poly_norm_aot.py:153:21 ] ]
	v_add_f32_dpp v20, v20, v20 row_shr:4 row_mask:0xf bank_mask:0xf bound_ctrl:1
.Ltmp24:
	.loc	2 293 36                        ; standard.py:293:36 @[ poly_norm_aot.py:153:21 ]
	s_barrier
.Ltmp25:
	.loc	2 263 15                        ; standard.py:263:15 @[ standard.py:293:36 @[ poly_norm_aot.py:153:21 ] ]
	s_nop 0
	v_add_f32_dpp v20, v20, v20 row_shr:2 row_mask:0xf bank_mask:0xf bound_ctrl:1
	s_nop 1
	v_add_f32_dpp v20, v20, v20 row_shr:1 row_mask:0xf bank_mask:0xf bound_ctrl:1
.Ltmp26:
	.loc	2 293 36                        ; standard.py:293:36 @[ poly_norm_aot.py:153:21 ]
	v_mov_b32_e32 v21, v20
	s_nop 1
	v_mov_b32_dpp v21, v21 row_bcast:15 row_mask:0xa bank_mask:0xf bound_ctrl:1
.Ltmp27:
	.loc	2 263 15                        ; standard.py:263:15 @[ standard.py:293:36 @[ poly_norm_aot.py:153:21 ] ]
	v_add_f32_e32 v20, v20, v21
	s_nop 1
	v_add_f32_dpp v20, v20, v20 row_bcast:31 row_mask:0xf bank_mask:0xf bound_ctrl:1
.Ltmp28:
	.loc	2 293 36                        ; standard.py:293:36 @[ poly_norm_aot.py:153:21 ]
	s_nop 0
	v_readlane_b32 s44, v20, 63
	s_and_saveexec_b64 s[4:5], s[14:15]
; %bb.10:                               ;   in Loop: Header=BB0_3 Depth=1
	v_mov_b32_e32 v20, s39
	v_mov_b32_e32 v21, s44
	ds_write_b32 v20, v21
.Ltmp29:
; %bb.11:                               ;   in Loop: Header=BB0_3 Depth=1
	.loc	2 0 36 is_stmt 0                ; standard.py:0:36
	s_or_b64 exec, exec, s[4:5]
	.loc	1 153 21 is_stmt 1              ; poly_norm_aot.py:153:21
	v_mov_b32_e32 v20, 0
.Ltmp30:
	.loc	2 293 36                        ; standard.py:293:36 @[ poly_norm_aot.py:153:21 ]
	s_waitcnt lgkmcnt(0)
	s_barrier
	s_and_saveexec_b64 s[4:5], s[18:19]
; %bb.12:                               ;   in Loop: Header=BB0_3 Depth=1
	ds_read_b32 v20, v28
; %bb.13:                               ;   in Loop: Header=BB0_3 Depth=1
	.loc	2 0 36 is_stmt 0                ; standard.py:0:36
	s_or_b64 exec, exec, s[4:5]
	.loc	2 293 36                        ; standard.py:293:36 @[ poly_norm_aot.py:153:21 ]
	s_waitcnt lgkmcnt(0)
	v_mov_b32_e32 v21, v20
	s_nop 1
	v_mov_b32_dpp v21, v21 quad_perm:[2,3,0,1] row_mask:0xf bank_mask:0xf
.Ltmp31:
	.loc	2 263 15 is_stmt 1              ; standard.py:263:15 @[ standard.py:293:36 @[ poly_norm_aot.py:153:21 ] ]
	v_add_f32_e32 v20, v20, v21
.Ltmp32:
	.loc	2 293 36                        ; standard.py:293:36 @[ poly_norm_aot.py:153:21 ]
	v_mov_b32_e32 v21, v20
	s_nop 1
	v_mov_b32_dpp v21, v21 quad_perm:[1,0,3,2] row_mask:0xf bank_mask:0xf
	s_and_saveexec_b64 s[4:5], s[30:31]
; %bb.14:                               ;   in Loop: Header=BB0_3 Depth=1
	.loc	2 0 36 is_stmt 0                ; standard.py:0:36
	v_add_f32_e32 v20, v20, v21
	.loc	2 293 36                        ; standard.py:293:36 @[ poly_norm_aot.py:153:21 ]
	ds_write_b32 v28, v20
.Ltmp33:
; %bb.15:                               ;   in Loop: Header=BB0_3 Depth=1
	.loc	2 0 36                          ; standard.py:0:36
	s_or_b64 exec, exec, s[4:5]
.Ltmp34:
	.loc	2 263 15 is_stmt 1              ; standard.py:263:15 @[ standard.py:293:36 @[ poly_norm_aot.py:160:21 ] ]
	v_mul_f32_e32 v20, v15, v10
	v_fmac_f32_e32 v20, v17, v16
	v_fmac_f32_e32 v20, v19, v14
	;; [unrolled: 1-line block ×3, first 2 shown]
.Ltmp35:
	.loc	2 293 36                        ; standard.py:293:36 @[ poly_norm_aot.py:153:21 ]
	s_waitcnt lgkmcnt(0)
	s_barrier
.Ltmp36:
	.loc	2 263 15                        ; standard.py:263:15 @[ standard.py:293:36 @[ poly_norm_aot.py:160:21 ] ]
	v_add_f32_dpp v20, v20, v20 row_shr:8 row_mask:0xf bank_mask:0xf bound_ctrl:1
.Ltmp37:
	.loc	2 293 36                        ; standard.py:293:36 @[ poly_norm_aot.py:153:21 ]
	ds_read_b32 v21, v30
.Ltmp38:
	.loc	2 293 36 is_stmt 0              ; standard.py:293:36 @[ poly_norm_aot.py:160:21 ]
	s_waitcnt lgkmcnt(0)
.Ltmp39:
	.loc	2 263 15 is_stmt 1              ; standard.py:263:15 @[ standard.py:293:36 @[ poly_norm_aot.py:160:21 ] ]
	v_add_f32_dpp v20, v20, v20 row_shr:4 row_mask:0xf bank_mask:0xf bound_ctrl:1
.Ltmp40:
	.loc	2 293 36                        ; standard.py:293:36 @[ poly_norm_aot.py:160:21 ]
	s_barrier
.Ltmp41:
	.loc	2 263 15                        ; standard.py:263:15 @[ standard.py:293:36 @[ poly_norm_aot.py:160:21 ] ]
	s_nop 0
	v_add_f32_dpp v20, v20, v20 row_shr:2 row_mask:0xf bank_mask:0xf bound_ctrl:1
	s_nop 1
	v_add_f32_dpp v20, v20, v20 row_shr:1 row_mask:0xf bank_mask:0xf bound_ctrl:1
.Ltmp42:
	.loc	2 293 36                        ; standard.py:293:36 @[ poly_norm_aot.py:160:21 ]
	v_mov_b32_e32 v32, v20
	s_nop 1
	v_mov_b32_dpp v32, v32 row_bcast:15 row_mask:0xa bank_mask:0xf bound_ctrl:1
.Ltmp43:
	.loc	2 263 15                        ; standard.py:263:15 @[ standard.py:293:36 @[ poly_norm_aot.py:160:21 ] ]
	v_add_f32_e32 v20, v20, v32
	s_nop 1
	v_add_f32_dpp v20, v20, v20 row_bcast:31 row_mask:0xf bank_mask:0xf bound_ctrl:1
.Ltmp44:
	.loc	2 293 36                        ; standard.py:293:36 @[ poly_norm_aot.py:160:21 ]
	s_nop 0
	v_readlane_b32 s44, v20, 63
	s_and_saveexec_b64 s[4:5], s[14:15]
; %bb.16:                               ;   in Loop: Header=BB0_3 Depth=1
	v_mov_b32_e32 v20, s39
	v_mov_b32_e32 v32, s44
	ds_write_b32 v20, v32
.Ltmp45:
; %bb.17:                               ;   in Loop: Header=BB0_3 Depth=1
	.loc	2 0 36 is_stmt 0                ; standard.py:0:36
	s_or_b64 exec, exec, s[4:5]
	.loc	1 160 21 is_stmt 1              ; poly_norm_aot.py:160:21
	v_mov_b32_e32 v20, 0
.Ltmp46:
	.loc	2 293 36                        ; standard.py:293:36 @[ poly_norm_aot.py:160:21 ]
	s_waitcnt lgkmcnt(0)
	s_barrier
	s_and_saveexec_b64 s[4:5], s[18:19]
; %bb.18:                               ;   in Loop: Header=BB0_3 Depth=1
	ds_read_b32 v20, v28
; %bb.19:                               ;   in Loop: Header=BB0_3 Depth=1
	.loc	2 0 36 is_stmt 0                ; standard.py:0:36
	s_or_b64 exec, exec, s[4:5]
	.loc	2 293 36                        ; standard.py:293:36 @[ poly_norm_aot.py:160:21 ]
	s_waitcnt lgkmcnt(0)
	v_mov_b32_e32 v32, v20
	s_nop 1
	v_mov_b32_dpp v32, v32 quad_perm:[2,3,0,1] row_mask:0xf bank_mask:0xf
.Ltmp47:
	.loc	2 263 15 is_stmt 1              ; standard.py:263:15 @[ standard.py:293:36 @[ poly_norm_aot.py:160:21 ] ]
	v_add_f32_e32 v20, v20, v32
.Ltmp48:
	.loc	2 293 36                        ; standard.py:293:36 @[ poly_norm_aot.py:160:21 ]
	v_mov_b32_e32 v32, v20
	s_nop 1
	v_mov_b32_dpp v32, v32 quad_perm:[1,0,3,2] row_mask:0xf bank_mask:0xf
	s_and_saveexec_b64 s[4:5], s[30:31]
; %bb.20:                               ;   in Loop: Header=BB0_3 Depth=1
	.loc	2 0 36 is_stmt 0                ; standard.py:0:36
	v_add_f32_e32 v20, v20, v32
	.loc	2 293 36                        ; standard.py:293:36 @[ poly_norm_aot.py:160:21 ]
	ds_write_b32 v28, v20
.Ltmp49:
; %bb.21:                               ;   in Loop: Header=BB0_3 Depth=1
	.loc	2 0 36                          ; standard.py:0:36
	s_or_b64 exec, exec, s[4:5]
.Ltmp50:
	.loc	2 263 15 is_stmt 1              ; standard.py:263:15 @[ standard.py:293:36 @[ poly_norm_aot.py:166:21 ] ]
	v_mul_f32_e32 v32, v10, v18
	v_fmac_f32_e32 v32, v16, v3
	v_fmac_f32_e32 v32, v14, v7
	v_fmac_f32_e32 v32, v12, v11
.Ltmp51:
	.loc	2 293 36                        ; standard.py:293:36 @[ poly_norm_aot.py:160:21 ]
	s_waitcnt lgkmcnt(0)
	s_barrier
.Ltmp52:
	.loc	2 263 15                        ; standard.py:263:15 @[ standard.py:293:36 @[ poly_norm_aot.py:166:21 ] ]
	v_add_f32_dpp v32, v32, v32 row_shr:8 row_mask:0xf bank_mask:0xf bound_ctrl:1
.Ltmp53:
	.loc	2 293 36                        ; standard.py:293:36 @[ poly_norm_aot.py:160:21 ]
	ds_read_b32 v20, v30
.Ltmp54:
	.loc	2 293 36 is_stmt 0              ; standard.py:293:36 @[ poly_norm_aot.py:166:21 ]
	s_waitcnt lgkmcnt(0)
.Ltmp55:
	.loc	2 263 15 is_stmt 1              ; standard.py:263:15 @[ standard.py:293:36 @[ poly_norm_aot.py:166:21 ] ]
	v_add_f32_dpp v32, v32, v32 row_shr:4 row_mask:0xf bank_mask:0xf bound_ctrl:1
.Ltmp56:
	.loc	2 293 36                        ; standard.py:293:36 @[ poly_norm_aot.py:166:21 ]
	s_barrier
.Ltmp57:
	.loc	2 263 15                        ; standard.py:263:15 @[ standard.py:293:36 @[ poly_norm_aot.py:166:21 ] ]
	s_nop 0
	v_add_f32_dpp v32, v32, v32 row_shr:2 row_mask:0xf bank_mask:0xf bound_ctrl:1
	s_nop 1
	v_add_f32_dpp v32, v32, v32 row_shr:1 row_mask:0xf bank_mask:0xf bound_ctrl:1
.Ltmp58:
	.loc	2 293 36                        ; standard.py:293:36 @[ poly_norm_aot.py:166:21 ]
	v_mov_b32_e32 v33, v32
	s_nop 1
	v_mov_b32_dpp v33, v33 row_bcast:15 row_mask:0xa bank_mask:0xf bound_ctrl:1
.Ltmp59:
	.loc	2 263 15                        ; standard.py:263:15 @[ standard.py:293:36 @[ poly_norm_aot.py:166:21 ] ]
	v_add_f32_e32 v32, v32, v33
	s_nop 1
	v_add_f32_dpp v32, v32, v32 row_bcast:31 row_mask:0xf bank_mask:0xf bound_ctrl:1
.Ltmp60:
	.loc	2 293 36                        ; standard.py:293:36 @[ poly_norm_aot.py:166:21 ]
	s_nop 0
	v_readlane_b32 s44, v32, 63
	s_and_saveexec_b64 s[4:5], s[14:15]
; %bb.22:                               ;   in Loop: Header=BB0_3 Depth=1
	v_mov_b32_e32 v32, s39
	v_mov_b32_e32 v33, s44
	ds_write_b32 v32, v33
.Ltmp61:
; %bb.23:                               ;   in Loop: Header=BB0_3 Depth=1
	.loc	2 0 36 is_stmt 0                ; standard.py:0:36
	s_or_b64 exec, exec, s[4:5]
	.loc	1 166 21 is_stmt 1              ; poly_norm_aot.py:166:21
	v_mov_b32_e32 v32, 0
.Ltmp62:
	.loc	2 293 36                        ; standard.py:293:36 @[ poly_norm_aot.py:166:21 ]
	s_waitcnt lgkmcnt(0)
	s_barrier
	s_and_saveexec_b64 s[4:5], s[18:19]
; %bb.24:                               ;   in Loop: Header=BB0_3 Depth=1
	ds_read_b32 v32, v28
; %bb.25:                               ;   in Loop: Header=BB0_3 Depth=1
	.loc	2 0 36 is_stmt 0                ; standard.py:0:36
	s_or_b64 exec, exec, s[4:5]
	.loc	2 293 36                        ; standard.py:293:36 @[ poly_norm_aot.py:166:21 ]
	s_waitcnt lgkmcnt(0)
	v_mov_b32_e32 v33, v32
	s_nop 1
	v_mov_b32_dpp v33, v33 quad_perm:[2,3,0,1] row_mask:0xf bank_mask:0xf
.Ltmp63:
	.loc	2 263 15 is_stmt 1              ; standard.py:263:15 @[ standard.py:293:36 @[ poly_norm_aot.py:166:21 ] ]
	v_add_f32_e32 v32, v32, v33
.Ltmp64:
	.loc	2 293 36                        ; standard.py:293:36 @[ poly_norm_aot.py:166:21 ]
	v_mov_b32_e32 v33, v32
	s_nop 1
	v_mov_b32_dpp v33, v33 quad_perm:[1,0,3,2] row_mask:0xf bank_mask:0xf
	s_and_saveexec_b64 s[4:5], s[30:31]
	s_cbranch_execz .LBB0_2
; %bb.26:                               ;   in Loop: Header=BB0_3 Depth=1
	.loc	2 0 36 is_stmt 0                ; standard.py:0:36
	v_add_f32_e32 v32, v32, v33
	.loc	2 293 36                        ; standard.py:293:36 @[ poly_norm_aot.py:166:21 ]
	ds_write_b32 v28, v32
	s_branch .LBB0_2
.Ltmp65:
.LBB0_27:
	.loc	2 0 36                          ; standard.py:0:36
	v_mov_b32_e32 v9, 0
	v_mov_b32_e32 v8, 0
	;; [unrolled: 1-line block ×4, first 2 shown]
.LBB0_28:                               ; %Flow21
	s_load_dword s0, s[0:1], 0x50
	.loc	1 184 36 is_stmt 1              ; poly_norm_aot.py:184:36
	s_lshr_b32 s1, s33, 6
	.loc	1 181 56                        ; poly_norm_aot.py:181:56
	v_or_b32_e32 v0, s1, v5
	v_cmp_eq_u32_e32 vcc, 0, v0
	s_and_saveexec_b64 s[2:3], vcc
	s_cbranch_execz .LBB0_30
; %bb.29:                               ; %.critedge
	.loc	1 0 56 is_stmt 0                ; poly_norm_aot.py:0:56
	s_lshl_b64 s[2:3], s[16:17], 2
	s_add_u32 s2, s22, s2
	.loc	1 181 37                        ; poly_norm_aot.py:181:37
	s_waitcnt lgkmcnt(0)
	s_mul_hi_i32 s1, s0, s16
	s_mul_i32 s0, s0, s16
	s_addc_u32 s3, s23, s3
	.loc	1 181 22                        ; poly_norm_aot.py:181:22
	s_lshl_b64 s[0:1], s[0:1], 2
	s_add_u32 s0, s20, s0
	v_mov_b32_e32 v0, 0
	s_addc_u32 s1, s21, s1
	.loc	1 183 56 is_stmt 1              ; poly_norm_aot.py:183:56
	v_mov_b32_e32 v2, v9
	v_mov_b32_e32 v3, v8
	global_store_dwordx3 v0, v[2:4], s[0:1]
	.loc	1 184 36                        ; poly_norm_aot.py:184:36
	global_store_dword v0, v29, s[2:3]
.LBB0_30:                               ; %.critedge2
	.loc	1 184 4                         ; poly_norm_aot.py:184:4
	s_endpgm
.Ltmp66:
	.section	.rodata,"a",@progbits
	.p2align	6, 0x0
	.amdhsa_kernel _poly_norm_backward_kernel
		.amdhsa_group_segment_fixed_size 0
		.amdhsa_private_segment_fixed_size 0
		.amdhsa_kernarg_size 120
		.amdhsa_user_sgpr_count 16
		.amdhsa_user_sgpr_dispatch_ptr 0
		.amdhsa_user_sgpr_queue_ptr 0
		.amdhsa_user_sgpr_kernarg_segment_ptr 1
		.amdhsa_user_sgpr_dispatch_id 0
		.amdhsa_user_sgpr_kernarg_preload_length 14
		.amdhsa_user_sgpr_kernarg_preload_offset 0
		.amdhsa_user_sgpr_private_segment_size 0
		.amdhsa_uses_dynamic_stack 0
		.amdhsa_enable_private_segment 0
		.amdhsa_system_sgpr_workgroup_id_x 1
		.amdhsa_system_sgpr_workgroup_id_y 0
		.amdhsa_system_sgpr_workgroup_id_z 0
		.amdhsa_system_sgpr_workgroup_info 0
		.amdhsa_system_vgpr_workitem_id 0
		.amdhsa_next_free_vgpr 42
		.amdhsa_next_free_sgpr 45
		.amdhsa_accum_offset 44
		.amdhsa_reserve_vcc 1
		.amdhsa_reserve_xnack_mask 1
		.amdhsa_float_round_mode_32 0
		.amdhsa_float_round_mode_16_64 0
		.amdhsa_float_denorm_mode_32 3
		.amdhsa_float_denorm_mode_16_64 3
		.amdhsa_dx10_clamp 1
		.amdhsa_ieee_mode 1
		.amdhsa_fp16_overflow 0
		.amdhsa_tg_split 0
		.amdhsa_exception_fp_ieee_invalid_op 0
		.amdhsa_exception_fp_denorm_src 0
		.amdhsa_exception_fp_ieee_div_zero 0
		.amdhsa_exception_fp_ieee_overflow 0
		.amdhsa_exception_fp_ieee_underflow 0
		.amdhsa_exception_fp_ieee_inexact 0
		.amdhsa_exception_int_div_zero 0
	.end_amdhsa_kernel
	.text
.Lfunc_end0:
	.size	_poly_norm_backward_kernel, .Lfunc_end0-_poly_norm_backward_kernel
	.cfi_endproc
                                        ; -- End function
	.set _poly_norm_backward_kernel.num_vgpr, 42
	.set _poly_norm_backward_kernel.num_agpr, 0
	.set _poly_norm_backward_kernel.numbered_sgpr, 45
	.set _poly_norm_backward_kernel.num_named_barrier, 0
	.set _poly_norm_backward_kernel.private_seg_size, 0
	.set _poly_norm_backward_kernel.uses_vcc, 1
	.set _poly_norm_backward_kernel.uses_flat_scratch, 0
	.set _poly_norm_backward_kernel.has_dyn_sized_stack, 0
	.set _poly_norm_backward_kernel.has_recursion, 0
	.set _poly_norm_backward_kernel.has_indirect_call, 0
	.section	.AMDGPU.csdata,"",@progbits
; Kernel info:
; codeLenInByte = 2768
; TotalNumSgprs: 51
; NumVgprs: 42
; NumAgprs: 0
; TotalNumVgprs: 42
; ScratchSize: 0
; MemoryBound: 0
; FloatMode: 240
; IeeeMode: 1
; LDSByteSize: 0 bytes/workgroup (compile time only)
; SGPRBlocks: 6
; VGPRBlocks: 5
; NumSGPRsForWavesPerEU: 51
; NumVGPRsForWavesPerEU: 42
; AccumOffset: 44
; Occupancy: 8
; WaveLimiterHint : 0
; COMPUTE_PGM_RSRC2:SCRATCH_EN: 0
; COMPUTE_PGM_RSRC2:USER_SGPR: 16
; COMPUTE_PGM_RSRC2:TRAP_HANDLER: 0
; COMPUTE_PGM_RSRC2:TGID_X_EN: 1
; COMPUTE_PGM_RSRC2:TGID_Y_EN: 0
; COMPUTE_PGM_RSRC2:TGID_Z_EN: 0
; COMPUTE_PGM_RSRC2:TIDIG_COMP_CNT: 0
; COMPUTE_PGM_RSRC3_GFX90A:ACCUM_OFFSET: 10
; COMPUTE_PGM_RSRC3_GFX90A:TG_SPLIT: 0
	.text
	.p2alignl 6, 3212836864
	.fill 256, 4, 3212836864
	.section	.AMDGPU.gpr_maximums,"",@progbits
	.set amdgpu.max_num_vgpr, 0
	.set amdgpu.max_num_agpr, 0
	.set amdgpu.max_num_sgpr, 0
	.set amdgpu.max_num_named_barrier, 0
	.text
	.section	.debug_abbrev,"",@progbits
	.byte	1                               ; Abbreviation Code
	.byte	17                              ; DW_TAG_compile_unit
	.byte	1                               ; DW_CHILDREN_yes
	.byte	37                              ; DW_AT_producer
	.byte	14                              ; DW_FORM_strp
	.byte	19                              ; DW_AT_language
	.byte	5                               ; DW_FORM_data2
	.byte	3                               ; DW_AT_name
	.byte	14                              ; DW_FORM_strp
	.byte	16                              ; DW_AT_stmt_list
	.byte	23                              ; DW_FORM_sec_offset
	.byte	27                              ; DW_AT_comp_dir
	.byte	14                              ; DW_FORM_strp
	.byte	17                              ; DW_AT_low_pc
	.byte	1                               ; DW_FORM_addr
	.byte	18                              ; DW_AT_high_pc
	.byte	6                               ; DW_FORM_data4
	.byte	0                               ; EOM(1)
	.byte	0                               ; EOM(2)
	.byte	2                               ; Abbreviation Code
	.byte	46                              ; DW_TAG_subprogram
	.byte	0                               ; DW_CHILDREN_no
	.byte	3                               ; DW_AT_name
	.byte	14                              ; DW_FORM_strp
	.byte	32                              ; DW_AT_inline
	.byte	11                              ; DW_FORM_data1
	.byte	0                               ; EOM(1)
	.byte	0                               ; EOM(2)
	.byte	3                               ; Abbreviation Code
	.byte	46                              ; DW_TAG_subprogram
	.byte	1                               ; DW_CHILDREN_yes
	.byte	17                              ; DW_AT_low_pc
	.byte	1                               ; DW_FORM_addr
	.byte	18                              ; DW_AT_high_pc
	.byte	6                               ; DW_FORM_data4
	.byte	49                              ; DW_AT_abstract_origin
	.byte	19                              ; DW_FORM_ref4
	.byte	0                               ; EOM(1)
	.byte	0                               ; EOM(2)
	.byte	4                               ; Abbreviation Code
	.byte	29                              ; DW_TAG_inlined_subroutine
	.byte	1                               ; DW_CHILDREN_yes
	.byte	49                              ; DW_AT_abstract_origin
	.byte	19                              ; DW_FORM_ref4
	.byte	85                              ; DW_AT_ranges
	.byte	23                              ; DW_FORM_sec_offset
	.byte	88                              ; DW_AT_call_file
	.byte	11                              ; DW_FORM_data1
	.byte	89                              ; DW_AT_call_line
	.byte	11                              ; DW_FORM_data1
	.byte	87                              ; DW_AT_call_column
	.byte	11                              ; DW_FORM_data1
	.byte	0                               ; EOM(1)
	.byte	0                               ; EOM(2)
	.byte	5                               ; Abbreviation Code
	.byte	29                              ; DW_TAG_inlined_subroutine
	.byte	0                               ; DW_CHILDREN_no
	.byte	49                              ; DW_AT_abstract_origin
	.byte	19                              ; DW_FORM_ref4
	.byte	85                              ; DW_AT_ranges
	.byte	23                              ; DW_FORM_sec_offset
	.byte	88                              ; DW_AT_call_file
	.byte	11                              ; DW_FORM_data1
	.byte	89                              ; DW_AT_call_line
	.byte	5                               ; DW_FORM_data2
	.byte	87                              ; DW_AT_call_column
	.byte	11                              ; DW_FORM_data1
	.byte	0                               ; EOM(1)
	.byte	0                               ; EOM(2)
	;; [unrolled: 1-line block ×3, first 2 shown]
	.section	.debug_info,"",@progbits
.Lcu_begin0:
	.long	.Ldebug_info_end0-.Ldebug_info_start0 ; Length of Unit
.Ldebug_info_start0:
	.short	4                               ; DWARF version number
	.long	.debug_abbrev                   ; Offset Into Abbrev. Section
	.byte	8                               ; Address Size (in bytes)
	.byte	1                               ; Abbrev [1] 0xb:0xa0 DW_TAG_compile_unit
	.long	.Linfo_string0                  ; DW_AT_producer
	.short	2                               ; DW_AT_language
	.long	.Linfo_string1                  ; DW_AT_name
	.long	.Lline_table_start0             ; DW_AT_stmt_list
	.long	.Linfo_string2                  ; DW_AT_comp_dir
	.quad	.Lfunc_begin0                   ; DW_AT_low_pc
	.long	.Lfunc_end0-.Lfunc_begin0       ; DW_AT_high_pc
	.byte	2                               ; Abbrev [2] 0x2a:0x6 DW_TAG_subprogram
	.long	.Linfo_string3                  ; DW_AT_name
	.byte	1                               ; DW_AT_inline
	.byte	3                               ; Abbrev [3] 0x30:0x7a DW_TAG_subprogram
	.quad	.Lfunc_begin0                   ; DW_AT_low_pc
	.long	.Lfunc_end0-.Lfunc_begin0       ; DW_AT_high_pc
	.long	42                              ; DW_AT_abstract_origin
	.byte	4                               ; Abbrev [4] 0x41:0x1a DW_TAG_inlined_subroutine
	.long	42                              ; DW_AT_abstract_origin
	.long	.Ldebug_ranges0                 ; DW_AT_ranges
	.byte	1                               ; DW_AT_call_file
	.byte	166                             ; DW_AT_call_line
	.byte	21                              ; DW_AT_call_column
	.byte	5                               ; Abbrev [5] 0x4d:0xd DW_TAG_inlined_subroutine
	.long	42                              ; DW_AT_abstract_origin
	.long	.Ldebug_ranges1                 ; DW_AT_ranges
	.byte	2                               ; DW_AT_call_file
	.short	293                             ; DW_AT_call_line
	.byte	36                              ; DW_AT_call_column
	.byte	0                               ; End Of Children Mark
	.byte	4                               ; Abbrev [4] 0x5b:0x1a DW_TAG_inlined_subroutine
	.long	42                              ; DW_AT_abstract_origin
	.long	.Ldebug_ranges2                 ; DW_AT_ranges
	.byte	1                               ; DW_AT_call_file
	.byte	149                             ; DW_AT_call_line
	.byte	25                              ; DW_AT_call_column
	.byte	5                               ; Abbrev [5] 0x67:0xd DW_TAG_inlined_subroutine
	.long	42                              ; DW_AT_abstract_origin
	.long	.Ldebug_ranges3                 ; DW_AT_ranges
	.byte	2                               ; DW_AT_call_file
	.short	293                             ; DW_AT_call_line
	.byte	36                              ; DW_AT_call_column
	.byte	0                               ; End Of Children Mark
	;; [unrolled: 13-line block ×4, first 2 shown]
	.byte	0                               ; End Of Children Mark
	.byte	0                               ; End Of Children Mark
.Ldebug_info_end0:
	.section	.debug_ranges,"",@progbits
.Ldebug_ranges0:
	.quad	.Ltmp2-.Lfunc_begin0
	.quad	.Ltmp3-.Lfunc_begin0
	;; [unrolled: 1-line block ×10, first 2 shown]
	.quad	0
	.quad	0
.Ldebug_ranges1:
	.quad	.Ltmp50-.Lfunc_begin0
	.quad	.Ltmp51-.Lfunc_begin0
	;; [unrolled: 1-line block ×12, first 2 shown]
	.quad	0
	.quad	0
.Ldebug_ranges2:
	.quad	.Ltmp4-.Lfunc_begin0
	.quad	.Ltmp9-.Lfunc_begin0
	;; [unrolled: 1-line block ×8, first 2 shown]
	.quad	0
	.quad	0
.Ldebug_ranges3:
	.quad	.Ltmp5-.Lfunc_begin0
	.quad	.Ltmp6-.Lfunc_begin0
	.quad	.Ltmp7-.Lfunc_begin0
	.quad	.Ltmp8-.Lfunc_begin0
	.quad	.Ltmp11-.Lfunc_begin0
	.quad	.Ltmp12-.Lfunc_begin0
	.quad	0
	.quad	0
.Ldebug_ranges4:
	.quad	.Ltmp14-.Lfunc_begin0
	.quad	.Ltmp15-.Lfunc_begin0
	;; [unrolled: 1-line block ×16, first 2 shown]
	.quad	0
	.quad	0
.Ldebug_ranges5:
	.quad	.Ltmp14-.Lfunc_begin0
	.quad	.Ltmp15-.Lfunc_begin0
	;; [unrolled: 1-line block ×16, first 2 shown]
	.quad	0
	.quad	0
.Ldebug_ranges6:
	.quad	.Ltmp34-.Lfunc_begin0
	.quad	.Ltmp35-.Lfunc_begin0
	;; [unrolled: 1-line block ×12, first 2 shown]
	.quad	0
	.quad	0
.Ldebug_ranges7:
	.quad	.Ltmp34-.Lfunc_begin0
	.quad	.Ltmp35-.Lfunc_begin0
	;; [unrolled: 1-line block ×12, first 2 shown]
	.quad	0
	.quad	0
	.section	.debug_str,"MS",@progbits,1
.Linfo_string0:
	.asciz	"triton"                        ; string offset=0
.Linfo_string1:
	.asciz	"poly_norm_aot.py"              ; string offset=7
.Linfo_string2:
	.asciz	"/root/src/amdgpu-assembly/repos/linkedin__Liger-Kernel/triton_aot_kernels" ; string offset=24
.Linfo_string3:
	.asciz	"_poly_norm_backward_kernel"    ; string offset=98
	.section	".note.GNU-stack","",@progbits
	.amdgpu_metadata
---
amdhsa.kernels:
  - .agpr_count:     0
    .args:
      - .address_space:  global
        .offset:         0
        .size:           8
        .value_kind:     global_buffer
      - .offset:         8
        .size:           4
        .value_kind:     by_value
      - .address_space:  global
        .offset:         16
        .size:           8
        .value_kind:     global_buffer
      - .offset:         24
        .size:           4
        .value_kind:     by_value
      - .address_space:  global
        .offset:         32
        .size:           8
        .value_kind:     global_buffer
      - .offset:         40
        .size:           4
        .value_kind:     by_value
      - .address_space:  global
        .offset:         48
        .size:           8
        .value_kind:     global_buffer
      - .address_space:  global
        .offset:         56
        .size:           8
        .value_kind:     global_buffer
      - .offset:         64
        .size:           4
        .value_kind:     by_value
      - .address_space:  global
        .offset:         72
        .size:           8
        .value_kind:     global_buffer
      - .offset:         80
        .size:           4
        .value_kind:     by_value
      - .address_space:  global
        .offset:         88
        .size:           8
        .value_kind:     global_buffer
      - .offset:         96
        .size:           4
        .value_kind:     by_value
      - .offset:         100
        .size:           4
        .value_kind:     by_value
      - .address_space:  global
        .offset:         104
        .size:           8
        .value_kind:     global_buffer
      - .address_space:  global
        .offset:         112
        .size:           8
        .value_kind:     global_buffer
    .group_segment_fixed_size: 0
    .kernarg_segment_align: 8
    .kernarg_segment_size: 120
    .max_flat_workgroup_size: 256
    .name:           _poly_norm_backward_kernel
    .private_segment_fixed_size: 0
    .sgpr_count:     51
    .sgpr_spill_count: 0
    .symbol:         _poly_norm_backward_kernel.kd
    .uniform_work_group_size: 1
    .uses_dynamic_stack: false
    .vgpr_count:     42
    .vgpr_spill_count: 0
    .wavefront_size: 64
amdhsa.target:   amdgcn-amd-amdhsa--gfx950
amdhsa.version:
  - 1
  - 2
...

	.end_amdgpu_metadata
	.section	.debug_line,"",@progbits
.Lline_table_start0:
